;; amdgpu-corpus repo=ROCm/rocFFT kind=compiled arch=gfx1201 opt=O3
	.text
	.amdgcn_target "amdgcn-amd-amdhsa--gfx1201"
	.amdhsa_code_object_version 6
	.protected	fft_rtc_fwd_len512_factors_8_8_8_wgs_512_tpt_128_sp_op_CI_CI_sbrc_z_xy_diag_dirReg ; -- Begin function fft_rtc_fwd_len512_factors_8_8_8_wgs_512_tpt_128_sp_op_CI_CI_sbrc_z_xy_diag_dirReg
	.globl	fft_rtc_fwd_len512_factors_8_8_8_wgs_512_tpt_128_sp_op_CI_CI_sbrc_z_xy_diag_dirReg
	.p2align	8
	.type	fft_rtc_fwd_len512_factors_8_8_8_wgs_512_tpt_128_sp_op_CI_CI_sbrc_z_xy_diag_dirReg,@function
fft_rtc_fwd_len512_factors_8_8_8_wgs_512_tpt_128_sp_op_CI_CI_sbrc_z_xy_diag_dirReg: ; @fft_rtc_fwd_len512_factors_8_8_8_wgs_512_tpt_128_sp_op_CI_CI_sbrc_z_xy_diag_dirReg
; %bb.0:
	s_load_b256 s[4:11], s[0:1], 0x0
	v_lshrrev_b32_e32 v17, 2, v0
	v_and_b32_e32 v18, 3, v0
	v_lshl_add_u32 v9, v0, 5, 0
	s_delay_alu instid0(VALU_DEP_3) | instskip(NEXT) | instid1(VALU_DEP_1)
	v_lshl_add_u32 v20, v17, 5, 0
	v_lshl_add_u32 v13, v18, 3, v20
	s_wait_kmcnt 0x0
	s_load_b128 s[12:15], s[8:9], 0x8
	s_load_b32 s20, s[10:11], 0x10
	s_wait_kmcnt 0x0
	s_add_co_i32 s2, s12, -1
	s_delay_alu instid0(SALU_CYCLE_1) | instskip(NEXT) | instid1(SALU_CYCLE_1)
	s_lshr_b32 s2, s2, 2
	s_add_co_i32 s2, s2, 1
	s_delay_alu instid0(SALU_CYCLE_1) | instskip(SKIP_3) | instid1(SALU_CYCLE_2)
	s_mul_i32 s8, s2, s14
	s_load_b128 s[12:15], s[10:11], 0x0
	s_cvt_f32_u32 s2, s8
	s_sub_co_i32 s3, 0, s8
	v_rcp_iflag_f32_e32 v1, s2
	s_delay_alu instid0(TRANS32_DEP_1) | instskip(SKIP_2) | instid1(VALU_DEP_2)
	v_readfirstlane_b32 s2, v1
	s_wait_kmcnt 0x0
	v_mad_co_u64_u32 v[1:2], null, s12, v0, 0
	s_mul_f32 s2, s2, 0x4f7ffffe
	s_wait_alu 0xfffe
	s_delay_alu instid0(SALU_CYCLE_2) | instskip(NEXT) | instid1(VALU_DEP_1)
	s_cvt_u32_f32 s2, s2
	v_mad_co_u64_u32 v[2:3], null, s13, v0, v[2:3]
	s_wait_alu 0xfffe
	s_delay_alu instid0(SALU_CYCLE_1)
	s_mul_i32 s3, s3, s2
	s_wait_alu 0xfffe
	s_mul_hi_u32 s3, s2, s3
	s_wait_alu 0xfffe
	s_add_co_i32 s2, s2, s3
	s_wait_alu 0xfffe
	s_mul_hi_u32 s2, ttmp9, s2
	v_lshlrev_b64_e32 v[1:2], 3, v[1:2]
	s_wait_alu 0xfffe
	s_mul_i32 s3, s2, s8
	s_add_co_i32 s9, s2, 1
	s_wait_alu 0xfffe
	s_sub_co_i32 s3, ttmp9, s3
	s_wait_alu 0xfffe
	s_sub_co_i32 s15, s3, s8
	s_cmp_ge_u32 s3, s8
	s_cselect_b32 s2, s9, s2
	s_cselect_b32 s3, s15, s3
	s_wait_alu 0xfffe
	s_add_co_i32 s9, s2, 1
	s_cmp_ge_u32 s3, s8
	s_cselect_b32 s12, s9, s2
	s_lshl_b64 s[2:3], s[6:7], 3
	s_wait_alu 0xfffe
	s_mul_i32 s8, s12, s8
	s_add_nc_u64 s[6:7], s[10:11], s[2:3]
	s_sub_co_i32 s8, ttmp9, s8
	s_load_b64 s[6:7], s[6:7], 0x0
	s_clause 0x1
	s_load_b64 s[10:11], s[0:1], 0x58
	s_load_b64 s[18:19], s[0:1], 0x20
	s_and_b32 s16, s8, 0x7f
	s_lshr_b32 s8, s8, 7
	s_mov_b32 s9, 0
	s_add_co_i32 s8, s8, s16
	s_mov_b32 s13, s9
	s_lshl_b32 s16, s16, 2
	s_and_b32 s17, s8, 0x1ff
	s_mul_i32 s8, s16, s14
	s_mul_i32 s20, s17, s20
	s_mov_b32 s15, s9
	s_add_co_i32 s8, s20, s8
	s_lshl_b64 s[20:21], s[14:15], 3
	s_lshl_b64 s[22:23], s[8:9], 3
	s_add_co_i32 s8, s14, s14
	s_delay_alu instid0(SALU_CYCLE_1) | instskip(SKIP_4) | instid1(SALU_CYCLE_1)
	s_lshl_b64 s[24:25], s[8:9], 3
	s_add_co_i32 s8, s8, s14
	s_wait_kmcnt 0x0
	s_wait_alu 0xfffe
	s_mul_u64 s[6:7], s[6:7], s[12:13]
	s_lshl_b64 s[6:7], s[6:7], 3
	s_delay_alu instid0(SALU_CYCLE_1) | instskip(NEXT) | instid1(SALU_CYCLE_1)
	s_add_nc_u64 s[6:7], s[10:11], s[6:7]
	s_add_nc_u64 s[6:7], s[6:7], s[22:23]
	s_delay_alu instid0(SALU_CYCLE_1) | instskip(SKIP_2) | instid1(VALU_DEP_2)
	v_add_co_u32 v1, vcc_lo, s6, v1
	v_add_co_ci_u32_e32 v2, vcc_lo, s7, v2, vcc_lo
	s_lshl_b64 s[6:7], s[8:9], 3
	v_add_co_u32 v3, vcc_lo, v1, s20
	s_wait_alu 0xfffd
	s_delay_alu instid0(VALU_DEP_2)
	v_add_co_ci_u32_e32 v4, vcc_lo, s21, v2, vcc_lo
	v_add_co_u32 v5, vcc_lo, v1, s24
	s_wait_alu 0xfffd
	v_add_co_ci_u32_e32 v6, vcc_lo, s25, v2, vcc_lo
	s_wait_alu 0xfffe
	v_add_co_u32 v7, vcc_lo, v1, s6
	s_wait_alu 0xfffd
	v_add_co_ci_u32_e32 v8, vcc_lo, s7, v2, vcc_lo
	s_clause 0x3
	global_load_b64 v[1:2], v[1:2], off
	global_load_b64 v[3:4], v[3:4], off
	;; [unrolled: 1-line block ×4, first 2 shown]
	s_add_nc_u64 s[6:7], s[18:19], s[2:3]
	s_clause 0x2
	s_load_b128 s[8:11], s[18:19], 0x0
	s_load_b64 s[2:3], s[18:19], 0x10
	s_load_b64 s[6:7], s[6:7], 0x0
	v_cmp_gt_u32_e32 vcc_lo, 0x100, v0
	s_wait_loadcnt 0x2
	ds_store_2addr_b64 v9, v[1:2], v[3:4] offset1:1
	s_wait_loadcnt 0x0
	ds_store_2addr_b64 v9, v[5:6], v[7:8] offset0:2 offset1:3
	global_wb scope:SCOPE_SE
	s_wait_dscnt 0x0
	s_wait_kmcnt 0x0
	s_barrier_signal -1
	s_barrier_wait -1
	global_inv scope:SCOPE_SE
	ds_load_2addr_stride64_b64 v[1:4], v13 offset1:4
	ds_load_2addr_stride64_b64 v[5:8], v13 offset0:16 offset1:20
	ds_load_2addr_stride64_b64 v[9:12], v13 offset0:8 offset1:12
	;; [unrolled: 1-line block ×3, first 2 shown]
	global_wb scope:SCOPE_SE
	s_wait_dscnt 0x0
	s_barrier_signal -1
	s_barrier_wait -1
	global_inv scope:SCOPE_SE
	v_dual_sub_f32 v5, v1, v5 :: v_dual_sub_f32 v6, v2, v6
	v_dual_sub_f32 v13, v9, v13 :: v_dual_sub_f32 v14, v10, v14
	;; [unrolled: 1-line block ×4, first 2 shown]
	s_delay_alu instid0(VALU_DEP_3)
	v_sub_f32_e32 v19, v5, v14
	v_fma_f32 v1, v1, 2.0, -v5
	v_fma_f32 v2, v2, 2.0, -v6
	;; [unrolled: 1-line block ×8, first 2 shown]
	v_dual_add_f32 v21, v6, v13 :: v_dual_add_f32 v14, v8, v15
	v_dual_sub_f32 v13, v7, v16 :: v_dual_sub_f32 v16, v2, v10
	v_sub_f32_e32 v15, v1, v9
	v_fma_f32 v22, v5, 2.0, -v19
	s_delay_alu instid0(VALU_DEP_4)
	v_fma_f32 v23, v6, 2.0, -v21
	v_dual_sub_f32 v6, v3, v11 :: v_dual_sub_f32 v5, v4, v12
	v_fma_f32 v24, v7, 2.0, -v13
	v_fma_f32 v25, v8, 2.0, -v14
	v_fmamk_f32 v8, v14, 0x3f3504f3, v21
	v_fmamk_f32 v7, v13, 0x3f3504f3, v19
	v_fma_f32 v1, v1, 2.0, -v15
	v_fma_f32 v2, v2, 2.0, -v16
	v_fma_f32 v3, v3, 2.0, -v6
	v_add_f32_e32 v6, v16, v6
	v_fma_f32 v4, v4, 2.0, -v5
	v_dual_fmamk_f32 v11, v24, 0xbf3504f3, v22 :: v_dual_fmamk_f32 v12, v25, 0xbf3504f3, v23
	v_sub_f32_e32 v5, v15, v5
	s_delay_alu instid0(VALU_DEP_3) | instskip(SKIP_1) | instid1(VALU_DEP_4)
	v_dual_fmac_f32 v7, 0xbf3504f3, v14 :: v_dual_sub_f32 v10, v2, v4
	v_dual_fmac_f32 v8, 0x3f3504f3, v13 :: v_dual_sub_f32 v9, v1, v3
	v_fmac_f32_e32 v11, 0xbf3504f3, v25
	v_fmac_f32_e32 v12, 0x3f3504f3, v24
	v_fma_f32 v13, v15, 2.0, -v5
	v_fma_f32 v14, v16, 2.0, -v6
	;; [unrolled: 1-line block ×3, first 2 shown]
	v_lshlrev_b32_e32 v19, 3, v18
	v_fma_f32 v16, v21, 2.0, -v8
	v_fma_f32 v1, v1, 2.0, -v9
	v_fma_f32 v2, v2, 2.0, -v10
	v_fma_f32 v3, v22, 2.0, -v11
	v_fma_f32 v4, v23, 2.0, -v12
	s_and_saveexec_b32 s3, vcc_lo
	s_cbranch_execz .LBB0_2
; %bb.1:
	v_mul_u32_u24_e32 v21, 0xe0, v17
	s_delay_alu instid0(VALU_DEP_1)
	v_add3_u32 v20, v20, v21, v19
	ds_store_2addr_b64 v20, v[1:2], v[3:4] offset1:4
	ds_store_2addr_b64 v20, v[13:14], v[15:16] offset0:8 offset1:12
	ds_store_2addr_b64 v20, v[9:10], v[11:12] offset0:16 offset1:20
	;; [unrolled: 1-line block ×3, first 2 shown]
.LBB0_2:
	s_wait_alu 0xfffe
	s_or_b32 exec_lo, exec_lo, s3
	v_and_b32_e32 v20, 0xfc, v0
	global_wb scope:SCOPE_SE
	s_wait_dscnt 0x0
	s_barrier_signal -1
	s_barrier_wait -1
	global_inv scope:SCOPE_SE
	s_and_saveexec_b32 s3, vcc_lo
	s_cbranch_execz .LBB0_4
; %bb.3:
	v_lshlrev_b32_e32 v1, 3, v20
	s_delay_alu instid0(VALU_DEP_1)
	v_add3_u32 v5, 0, v1, v19
	ds_load_2addr_stride64_b64 v[1:4], v5 offset1:4
	ds_load_2addr_stride64_b64 v[13:16], v5 offset0:8 offset1:12
	ds_load_2addr_stride64_b64 v[9:12], v5 offset0:16 offset1:20
	;; [unrolled: 1-line block ×3, first 2 shown]
.LBB0_4:
	s_wait_alu 0xfffe
	s_or_b32 exec_lo, exec_lo, s3
	v_bfe_u32 v21, v0, 2, 3
	s_delay_alu instid0(VALU_DEP_1) | instskip(NEXT) | instid1(VALU_DEP_1)
	v_mul_u32_u24_e32 v0, 7, v21
	v_lshlrev_b32_e32 v0, 3, v0
	s_clause 0x3
	global_load_b128 v[22:25], v0, s[4:5]
	global_load_b128 v[26:29], v0, s[4:5] offset:16
	global_load_b128 v[30:33], v0, s[4:5] offset:32
	global_load_b64 v[34:35], v0, s[4:5] offset:48
	global_wb scope:SCOPE_SE
	s_wait_loadcnt_dscnt 0x0
	s_barrier_signal -1
	s_barrier_wait -1
	global_inv scope:SCOPE_SE
	v_mul_f32_e32 v0, v4, v23
	v_dual_mul_f32 v23, v3, v23 :: v_dual_mul_f32 v36, v14, v25
	v_mul_f32_e32 v37, v16, v27
	v_dual_mul_f32 v27, v15, v27 :: v_dual_mul_f32 v38, v10, v29
	v_dual_mul_f32 v39, v12, v31 :: v_dual_mul_f32 v40, v6, v33
	v_mul_f32_e32 v25, v13, v25
	v_mul_f32_e32 v41, v8, v35
	v_fma_f32 v0, v3, v22, -v0
	v_mul_f32_e32 v29, v9, v29
	v_fma_f32 v3, v13, v24, -v36
	v_fmac_f32_e32 v27, v16, v26
	v_fmac_f32_e32 v23, v4, v22
	v_fma_f32 v4, v15, v26, -v37
	v_mul_f32_e32 v33, v5, v33
	v_fma_f32 v9, v9, v28, -v38
	v_fma_f32 v5, v5, v32, -v40
	v_fmac_f32_e32 v29, v10, v28
	v_mul_f32_e32 v31, v11, v31
	v_fmac_f32_e32 v33, v6, v32
	v_fma_f32 v6, v7, v34, -v41
	v_sub_f32_e32 v5, v3, v5
	v_mul_f32_e32 v35, v7, v35
	v_sub_f32_e32 v7, v1, v9
	v_fma_f32 v10, v11, v30, -v39
	v_sub_f32_e32 v6, v4, v6
	v_fma_f32 v3, v3, 2.0, -v5
	v_fmac_f32_e32 v35, v8, v34
	v_fma_f32 v1, v1, 2.0, -v7
	v_sub_f32_e32 v8, v2, v29
	v_sub_f32_e32 v10, v0, v10
	v_fma_f32 v4, v4, 2.0, -v6
	s_delay_alu instid0(VALU_DEP_4) | instskip(SKIP_3) | instid1(VALU_DEP_3)
	v_sub_f32_e32 v3, v1, v3
	v_dual_fmac_f32 v31, v12, v30 :: v_dual_sub_f32 v12, v27, v35
	v_fma_f32 v2, v2, 2.0, -v8
	v_fma_f32 v0, v0, 2.0, -v10
	v_dual_add_f32 v22, v8, v5 :: v_dual_sub_f32 v11, v23, v31
	v_fmac_f32_e32 v25, v14, v24
	v_fma_f32 v15, v27, 2.0, -v12
	s_delay_alu instid0(VALU_DEP_4) | instskip(NEXT) | instid1(VALU_DEP_4)
	v_sub_f32_e32 v5, v0, v4
	v_fma_f32 v24, v8, 2.0, -v22
	v_fma_f32 v14, v23, 2.0, -v11
	v_sub_f32_e32 v9, v25, v33
	v_fma_f32 v1, v1, 2.0, -v3
	v_fma_f32 v0, v0, 2.0, -v5
	s_delay_alu instid0(VALU_DEP_4) | instskip(NEXT) | instid1(VALU_DEP_4)
	v_sub_f32_e32 v4, v14, v15
	v_fma_f32 v13, v25, 2.0, -v9
	v_dual_sub_f32 v16, v7, v9 :: v_dual_sub_f32 v9, v10, v12
	v_add_f32_e32 v12, v11, v6
	s_delay_alu instid0(VALU_DEP_4) | instskip(NEXT) | instid1(VALU_DEP_4)
	v_fma_f32 v14, v14, 2.0, -v4
	v_sub_f32_e32 v13, v2, v13
	s_delay_alu instid0(VALU_DEP_4)
	v_fma_f32 v23, v7, 2.0, -v16
	v_fma_f32 v15, v10, 2.0, -v9
	v_fma_f32 v25, v11, 2.0, -v12
	v_fmamk_f32 v6, v9, 0x3f3504f3, v16
	v_fmamk_f32 v7, v12, 0x3f3504f3, v22
	v_fma_f32 v2, v2, 2.0, -v13
	s_delay_alu instid0(VALU_DEP_4) | instskip(SKIP_3) | instid1(VALU_DEP_4)
	v_dual_fmamk_f32 v10, v15, 0xbf3504f3, v23 :: v_dual_fmamk_f32 v11, v25, 0xbf3504f3, v24
	v_dual_sub_f32 v4, v3, v4 :: v_dual_add_f32 v5, v13, v5
	v_fmac_f32_e32 v6, 0xbf3504f3, v12
	v_dual_fmac_f32 v7, 0x3f3504f3, v9 :: v_dual_sub_f32 v8, v1, v0
	v_dual_sub_f32 v9, v2, v14 :: v_dual_fmac_f32 v10, 0xbf3504f3, v25
	v_fmac_f32_e32 v11, 0x3f3504f3, v15
	v_fma_f32 v12, v3, 2.0, -v4
	v_fma_f32 v13, v13, 2.0, -v5
	;; [unrolled: 1-line block ×8, first 2 shown]
	s_and_saveexec_b32 s3, vcc_lo
	s_cbranch_execz .LBB0_6
; %bb.5:
	v_lshlrev_b32_e32 v16, 3, v17
	s_delay_alu instid0(VALU_DEP_1) | instskip(NEXT) | instid1(VALU_DEP_1)
	v_and_or_b32 v16, 0x1c0, v16, v21
	v_lshlrev_b32_e32 v16, 5, v16
	s_delay_alu instid0(VALU_DEP_1)
	v_add3_u32 v16, 0, v16, v19
	ds_store_2addr_b64 v16, v[0:1], v[2:3] offset1:32
	ds_store_2addr_b64 v16, v[12:13], v[14:15] offset0:64 offset1:96
	ds_store_2addr_b64 v16, v[8:9], v[10:11] offset0:128 offset1:160
	;; [unrolled: 1-line block ×3, first 2 shown]
.LBB0_6:
	s_wait_alu 0xfffe
	s_or_b32 exec_lo, exec_lo, s3
	global_wb scope:SCOPE_SE
	s_wait_dscnt 0x0
	s_barrier_signal -1
	s_barrier_wait -1
	global_inv scope:SCOPE_SE
	s_and_saveexec_b32 s3, vcc_lo
	s_cbranch_execnz .LBB0_9
; %bb.7:
	s_wait_alu 0xfffe
	s_or_b32 exec_lo, exec_lo, s3
	s_and_saveexec_b32 s3, vcc_lo
	s_cbranch_execnz .LBB0_10
.LBB0_8:
	s_endpgm
.LBB0_9:
	v_lshlrev_b32_e32 v0, 3, v20
	s_delay_alu instid0(VALU_DEP_1)
	v_add3_u32 v4, 0, v0, v19
	ds_load_2addr_stride64_b64 v[0:3], v4 offset1:4
	ds_load_2addr_stride64_b64 v[12:15], v4 offset0:8 offset1:12
	ds_load_2addr_stride64_b64 v[8:11], v4 offset0:16 offset1:20
	ds_load_2addr_stride64_b64 v[4:7], v4 offset0:24 offset1:28
	s_wait_alu 0xfffe
	s_or_b32 exec_lo, exec_lo, s3
	s_and_saveexec_b32 s3, vcc_lo
	s_cbranch_execz .LBB0_8
.LBB0_10:
	v_mul_u32_u24_e32 v16, 7, v17
	v_or_b32_e32 v18, s16, v18
	v_mul_lo_u32 v33, v17, s2
	s_load_b64 s[0:1], s[0:1], 0x60
	v_or_b32_e32 v43, 0x140, v17
	v_lshlrev_b32_e32 v16, 3, v16
	v_mad_co_u64_u32 v[35:36], null, s8, v18, 0
	v_or_b32_e32 v41, 64, v17
	v_or_b32_e32 v42, 0x80, v17
	s_clause 0x3
	global_load_b128 v[19:22], v16, s[4:5] offset:448
	global_load_b128 v[23:26], v16, s[4:5] offset:480
	;; [unrolled: 1-line block ×3, first 2 shown]
	global_load_b64 v[31:32], v16, s[4:5] offset:496
	v_mov_b32_e32 v34, 0
	v_or_b32_e32 v45, 0xc0, v17
	v_or_b32_e32 v46, 0x180, v17
	v_mov_b32_e32 v16, v36
	v_or_b32_e32 v49, 0x1c0, v17
	s_mul_u64 s[6:7], s[6:7], s[12:13]
	s_mul_i32 s4, s17, s10
	s_mov_b32 s5, 0
	s_wait_alu 0xfffe
	s_lshl_b64 s[6:7], s[6:7], 3
	s_lshl_b64 s[4:5], s[4:5], 3
	v_mul_lo_u32 v45, v45, s2
	s_wait_kmcnt 0x0
	s_wait_alu 0xfffe
	s_add_nc_u64 s[0:1], s[0:1], s[6:7]
	s_delay_alu instid0(SALU_CYCLE_1)
	s_add_nc_u64 s[0:1], s[0:1], s[4:5]
	s_wait_loadcnt_dscnt 0x303
	v_mul_f32_e32 v51, v3, v20
	v_lshlrev_b64_e32 v[37:38], 3, v[33:34]
	s_wait_loadcnt_dscnt 0x102
	v_mul_f32_e32 v53, v15, v27
	v_lshl_add_u32 v33, s2, 8, v33
	v_mad_co_u64_u32 v[16:17], null, s9, v18, v[16:17]
	v_mul_lo_u32 v17, v41, s2
	v_dual_mov_b32 v18, v34 :: v_dual_mul_f32 v15, v15, v28
	s_delay_alu instid0(VALU_DEP_4)
	v_lshlrev_b64_e32 v[39:40], 3, v[33:34]
	v_mul_lo_u32 v33, v43, s2
	v_mul_lo_u32 v41, v42, s2
	v_mov_b32_e32 v36, v16
	s_wait_dscnt 0x1
	v_mul_f32_e32 v52, v11, v24
	v_mul_f32_e32 v20, v2, v20
	;; [unrolled: 1-line block ×3, first 2 shown]
	v_mov_b32_e32 v42, v34
	v_lshlrev_b64_e32 v[35:36], 3, v[35:36]
	v_lshlrev_b64_e32 v[43:44], 3, v[33:34]
	v_mul_lo_u32 v33, v46, s2
	v_lshlrev_b64_e32 v[16:17], 3, v[17:18]
	v_dual_mul_f32 v18, v13, v22 :: v_dual_fmac_f32 v53, v14, v28
	v_mul_f32_e32 v22, v12, v22
	v_fmac_f32_e32 v20, v3, v19
	v_fmac_f32_e32 v24, v11, v23
	v_mov_b32_e32 v46, v34
	v_lshlrev_b64_e32 v[47:48], 3, v[33:34]
	v_mul_lo_u32 v33, v49, s2
	v_add_co_u32 v49, vcc_lo, s0, v35
	s_wait_alu 0xfffd
	v_add_co_ci_u32_e32 v50, vcc_lo, s1, v36, vcc_lo
	v_fmac_f32_e32 v22, v13, v21
	s_delay_alu instid0(VALU_DEP_3)
	v_add_co_u32 v35, vcc_lo, v49, v37
	s_wait_loadcnt_dscnt 0x0
	v_mul_f32_e32 v54, v7, v31
	v_mul_f32_e32 v7, v7, v32
	v_lshlrev_b64_e32 v[41:42], 3, v[41:42]
	s_wait_alu 0xfffd
	v_add_co_ci_u32_e32 v36, vcc_lo, v50, v38, vcc_lo
	v_lshlrev_b64_e32 v[45:46], 3, v[45:46]
	v_add_co_u32 v16, vcc_lo, v49, v16
	s_wait_alu 0xfffd
	v_add_co_ci_u32_e32 v17, vcc_lo, v50, v17, vcc_lo
	v_add_co_u32 v37, vcc_lo, v49, v41
	s_wait_alu 0xfffd
	v_add_co_ci_u32_e32 v38, vcc_lo, v50, v42, vcc_lo
	;; [unrolled: 3-line block ×3, first 2 shown]
	v_fma_f32 v12, v12, v21, -v18
	v_fma_f32 v18, v2, v19, -v51
	;; [unrolled: 1-line block ×3, first 2 shown]
	v_mul_f32_e32 v46, v9, v29
	v_mul_f32_e32 v9, v9, v30
	v_mul_f32_e32 v45, v5, v26
	v_fma_f32 v10, v14, v27, -v15
	v_add_co_u32 v39, vcc_lo, v49, v39
	s_delay_alu instid0(VALU_DEP_4)
	v_fma_f32 v3, v8, v29, -v9
	v_sub_f32_e32 v9, v20, v24
	s_wait_alu 0xfffd
	v_add_co_ci_u32_e32 v40, vcc_lo, v50, v40, vcc_lo
	v_lshlrev_b64_e32 v[33:34], 3, v[33:34]
	v_sub_f32_e32 v11, v0, v3
	v_mul_f32_e32 v26, v4, v26
	v_fma_f32 v4, v4, v25, -v45
	v_add_co_u32 v43, vcc_lo, v49, v43
	s_wait_alu 0xfffd
	v_add_co_ci_u32_e32 v44, vcc_lo, v50, v44, vcc_lo
	v_fmac_f32_e32 v26, v5, v25
	s_delay_alu instid0(VALU_DEP_1) | instskip(SKIP_4) | instid1(VALU_DEP_3)
	v_sub_f32_e32 v13, v22, v26
	v_fmac_f32_e32 v54, v6, v32
	v_fma_f32 v6, v6, v31, -v7
	v_sub_f32_e32 v7, v18, v2
	v_add_co_u32 v2, vcc_lo, v49, v47
	v_dual_sub_f32 v21, v11, v13 :: v_dual_sub_f32 v6, v10, v6
	v_fma_f32 v13, v22, 2.0, -v13
	v_fmac_f32_e32 v46, v8, v30
	v_fma_f32 v18, v18, 2.0, -v7
	s_delay_alu instid0(VALU_DEP_4) | instskip(SKIP_1) | instid1(VALU_DEP_4)
	v_fma_f32 v27, v11, 2.0, -v21
	v_dual_add_f32 v19, v9, v6 :: v_dual_sub_f32 v4, v12, v4
	v_sub_f32_e32 v5, v1, v46
	v_fma_f32 v6, v10, 2.0, -v6
	v_fma_f32 v10, v0, 2.0, -v11
	s_delay_alu instid0(VALU_DEP_4) | instskip(SKIP_4) | instid1(VALU_DEP_2)
	v_fma_f32 v26, v9, 2.0, -v19
	s_wait_alu 0xfffd
	v_add_co_ci_u32_e32 v3, vcc_lo, v50, v48, vcc_lo
	v_add_f32_e32 v14, v4, v5
	v_fma_f32 v23, v1, 2.0, -v5
	v_fmamk_f32 v1, v19, 0x3f3504f3, v14
	v_fma_f32 v24, v5, 2.0, -v14
	v_sub_f32_e32 v8, v53, v54
	v_fma_f32 v4, v12, 2.0, -v4
	v_sub_f32_e32 v13, v23, v13
	s_delay_alu instid0(VALU_DEP_3) | instskip(NEXT) | instid1(VALU_DEP_3)
	v_sub_f32_e32 v15, v7, v8
	v_sub_f32_e32 v22, v10, v4
	s_delay_alu instid0(VALU_DEP_2) | instskip(SKIP_4) | instid1(VALU_DEP_4)
	v_fma_f32 v25, v7, 2.0, -v15
	v_fmamk_f32 v7, v26, 0xbf3504f3, v24
	v_fma_f32 v8, v53, 2.0, -v8
	v_fmamk_f32 v0, v15, 0x3f3504f3, v21
	v_fmac_f32_e32 v1, 0x3f3504f3, v15
	v_fmac_f32_e32 v7, 0x3f3504f3, v25
	v_fma_f32 v12, v20, 2.0, -v9
	v_sub_f32_e32 v20, v18, v6
	v_fmac_f32_e32 v0, 0xbf3504f3, v19
	v_fma_f32 v19, v23, 2.0, -v13
	v_fma_f32 v23, v10, 2.0, -v22
	v_sub_f32_e32 v8, v12, v8
	v_add_f32_e32 v5, v13, v20
	v_fma_f32 v10, v18, 2.0, -v20
	v_fmamk_f32 v6, v25, 0xbf3504f3, v27
	v_fma_f32 v9, v14, 2.0, -v1
	v_fma_f32 v12, v12, 2.0, -v8
	;; [unrolled: 1-line block ×3, first 2 shown]
	v_sub_f32_e32 v4, v22, v8
	v_fmac_f32_e32 v6, 0xbf3504f3, v26
	v_fma_f32 v15, v24, 2.0, -v7
	v_sub_f32_e32 v13, v19, v12
	v_sub_f32_e32 v12, v23, v10
	v_fma_f32 v10, v22, 2.0, -v4
	v_fma_f32 v14, v27, 2.0, -v6
	;; [unrolled: 1-line block ×5, first 2 shown]
	v_add_co_u32 v20, vcc_lo, v49, v33
	s_wait_alu 0xfffd
	v_add_co_ci_u32_e32 v21, vcc_lo, v50, v34, vcc_lo
	s_clause 0x7
	global_store_b64 v[35:36], v[18:19], off
	global_store_b64 v[16:17], v[14:15], off
	;; [unrolled: 1-line block ×8, first 2 shown]
	s_nop 0
	s_sendmsg sendmsg(MSG_DEALLOC_VGPRS)
	s_endpgm
	.section	.rodata,"a",@progbits
	.p2align	6, 0x0
	.amdhsa_kernel fft_rtc_fwd_len512_factors_8_8_8_wgs_512_tpt_128_sp_op_CI_CI_sbrc_z_xy_diag_dirReg
		.amdhsa_group_segment_fixed_size 0
		.amdhsa_private_segment_fixed_size 0
		.amdhsa_kernarg_size 104
		.amdhsa_user_sgpr_count 2
		.amdhsa_user_sgpr_dispatch_ptr 0
		.amdhsa_user_sgpr_queue_ptr 0
		.amdhsa_user_sgpr_kernarg_segment_ptr 1
		.amdhsa_user_sgpr_dispatch_id 0
		.amdhsa_user_sgpr_private_segment_size 0
		.amdhsa_wavefront_size32 1
		.amdhsa_uses_dynamic_stack 0
		.amdhsa_enable_private_segment 0
		.amdhsa_system_sgpr_workgroup_id_x 1
		.amdhsa_system_sgpr_workgroup_id_y 0
		.amdhsa_system_sgpr_workgroup_id_z 0
		.amdhsa_system_sgpr_workgroup_info 0
		.amdhsa_system_vgpr_workitem_id 0
		.amdhsa_next_free_vgpr 55
		.amdhsa_next_free_sgpr 26
		.amdhsa_reserve_vcc 1
		.amdhsa_float_round_mode_32 0
		.amdhsa_float_round_mode_16_64 0
		.amdhsa_float_denorm_mode_32 3
		.amdhsa_float_denorm_mode_16_64 3
		.amdhsa_fp16_overflow 0
		.amdhsa_workgroup_processor_mode 1
		.amdhsa_memory_ordered 1
		.amdhsa_forward_progress 0
		.amdhsa_round_robin_scheduling 0
		.amdhsa_exception_fp_ieee_invalid_op 0
		.amdhsa_exception_fp_denorm_src 0
		.amdhsa_exception_fp_ieee_div_zero 0
		.amdhsa_exception_fp_ieee_overflow 0
		.amdhsa_exception_fp_ieee_underflow 0
		.amdhsa_exception_fp_ieee_inexact 0
		.amdhsa_exception_int_div_zero 0
	.end_amdhsa_kernel
	.text
.Lfunc_end0:
	.size	fft_rtc_fwd_len512_factors_8_8_8_wgs_512_tpt_128_sp_op_CI_CI_sbrc_z_xy_diag_dirReg, .Lfunc_end0-fft_rtc_fwd_len512_factors_8_8_8_wgs_512_tpt_128_sp_op_CI_CI_sbrc_z_xy_diag_dirReg
                                        ; -- End function
	.section	.AMDGPU.csdata,"",@progbits
; Kernel info:
; codeLenInByte = 3128
; NumSgprs: 28
; NumVgprs: 55
; ScratchSize: 0
; MemoryBound: 0
; FloatMode: 240
; IeeeMode: 1
; LDSByteSize: 0 bytes/workgroup (compile time only)
; SGPRBlocks: 3
; VGPRBlocks: 6
; NumSGPRsForWavesPerEU: 28
; NumVGPRsForWavesPerEU: 55
; Occupancy: 16
; WaveLimiterHint : 1
; COMPUTE_PGM_RSRC2:SCRATCH_EN: 0
; COMPUTE_PGM_RSRC2:USER_SGPR: 2
; COMPUTE_PGM_RSRC2:TRAP_HANDLER: 0
; COMPUTE_PGM_RSRC2:TGID_X_EN: 1
; COMPUTE_PGM_RSRC2:TGID_Y_EN: 0
; COMPUTE_PGM_RSRC2:TGID_Z_EN: 0
; COMPUTE_PGM_RSRC2:TIDIG_COMP_CNT: 0
	.text
	.p2alignl 7, 3214868480
	.fill 96, 4, 3214868480
	.type	__hip_cuid_eb4f568d2761e8a4,@object ; @__hip_cuid_eb4f568d2761e8a4
	.section	.bss,"aw",@nobits
	.globl	__hip_cuid_eb4f568d2761e8a4
__hip_cuid_eb4f568d2761e8a4:
	.byte	0                               ; 0x0
	.size	__hip_cuid_eb4f568d2761e8a4, 1

	.ident	"AMD clang version 19.0.0git (https://github.com/RadeonOpenCompute/llvm-project roc-6.4.0 25133 c7fe45cf4b819c5991fe208aaa96edf142730f1d)"
	.section	".note.GNU-stack","",@progbits
	.addrsig
	.addrsig_sym __hip_cuid_eb4f568d2761e8a4
	.amdgpu_metadata
---
amdhsa.kernels:
  - .args:
      - .actual_access:  read_only
        .address_space:  global
        .offset:         0
        .size:           8
        .value_kind:     global_buffer
      - .offset:         8
        .size:           8
        .value_kind:     by_value
      - .actual_access:  read_only
        .address_space:  global
        .offset:         16
        .size:           8
        .value_kind:     global_buffer
      - .actual_access:  read_only
        .address_space:  global
        .offset:         24
        .size:           8
        .value_kind:     global_buffer
      - .actual_access:  read_only
        .address_space:  global
        .offset:         32
        .size:           8
        .value_kind:     global_buffer
      - .offset:         40
        .size:           8
        .value_kind:     by_value
      - .actual_access:  read_only
        .address_space:  global
        .offset:         48
        .size:           8
        .value_kind:     global_buffer
      - .actual_access:  read_only
        .address_space:  global
        .offset:         56
        .size:           8
        .value_kind:     global_buffer
      - .offset:         64
        .size:           4
        .value_kind:     by_value
      - .actual_access:  read_only
        .address_space:  global
        .offset:         72
        .size:           8
        .value_kind:     global_buffer
      - .actual_access:  read_only
        .address_space:  global
        .offset:         80
        .size:           8
        .value_kind:     global_buffer
      - .actual_access:  read_only
        .address_space:  global
        .offset:         88
        .size:           8
        .value_kind:     global_buffer
      - .actual_access:  write_only
        .address_space:  global
        .offset:         96
        .size:           8
        .value_kind:     global_buffer
    .group_segment_fixed_size: 0
    .kernarg_segment_align: 8
    .kernarg_segment_size: 104
    .language:       OpenCL C
    .language_version:
      - 2
      - 0
    .max_flat_workgroup_size: 512
    .name:           fft_rtc_fwd_len512_factors_8_8_8_wgs_512_tpt_128_sp_op_CI_CI_sbrc_z_xy_diag_dirReg
    .private_segment_fixed_size: 0
    .sgpr_count:     28
    .sgpr_spill_count: 0
    .symbol:         fft_rtc_fwd_len512_factors_8_8_8_wgs_512_tpt_128_sp_op_CI_CI_sbrc_z_xy_diag_dirReg.kd
    .uniform_work_group_size: 1
    .uses_dynamic_stack: false
    .vgpr_count:     55
    .vgpr_spill_count: 0
    .wavefront_size: 32
    .workgroup_processor_mode: 1
amdhsa.target:   amdgcn-amd-amdhsa--gfx1201
amdhsa.version:
  - 1
  - 2
...

	.end_amdgpu_metadata
